;; amdgpu-corpus repo=ROCm/rocm-examples kind=compiled arch=gfx1201 opt=O3
	.amdgcn_target "amdgcn-amd-amdhsa--gfx1201"
	.amdhsa_code_object_version 6
	.text
	.protected	_Z15sgemm_rocwmma_djjjPKfS0_S0_Pfjjjjff ; -- Begin function _Z15sgemm_rocwmma_djjjPKfS0_S0_Pfjjjjff
	.globl	_Z15sgemm_rocwmma_djjjPKfS0_S0_Pfjjjjff
	.p2align	8
	.type	_Z15sgemm_rocwmma_djjjPKfS0_S0_Pfjjjjff,@function
_Z15sgemm_rocwmma_djjjPKfS0_S0_Pfjjjjff: ; @_Z15sgemm_rocwmma_djjjPKfS0_S0_Pfjjjjff
; %bb.0:
	v_and_b32_e32 v4, 0x3ff, v0
	s_load_b96 s[16:18], s[0:1], 0x0
	v_bfe_u32 v0, v0, 10, 10
	s_lshl_b32 s20, ttmp9, 8
	s_lshl_b32 s22, ttmp7, 7
	v_lshlrev_b32_e32 v5, 1, v4
	s_delay_alu instid0(VALU_DEP_2) | instskip(NEXT) | instid1(VALU_DEP_2)
	v_lshl_add_u32 v118, v0, 6, s22
	v_and_b32_e32 v1, 0x1c0, v5
	s_delay_alu instid0(VALU_DEP_2) | instskip(NEXT) | instid1(VALU_DEP_2)
	v_add_nc_u32_e32 v2, 64, v118
	v_add_nc_u32_e32 v120, s20, v1
	s_delay_alu instid0(VALU_DEP_1) | instskip(SKIP_1) | instid1(VALU_DEP_3)
	v_add_nc_u32_e32 v1, 64, v120
	s_wait_kmcnt 0x0
	v_cmp_ge_u32_e64 s2, s17, v2
	s_delay_alu instid0(VALU_DEP_2) | instskip(SKIP_1) | instid1(SALU_CYCLE_1)
	v_cmp_ge_u32_e32 vcc_lo, s16, v1
	s_and_b32 s2, vcc_lo, s2
	s_and_saveexec_b32 s3, s2
	s_cbranch_execz .LBB0_5
; %bb.1:
	s_load_b128 s[12:15], s[0:1], 0x30
	v_lshrrev_b32_e32 v1, 4, v4
	v_lshlrev_b32_e32 v2, 4, v4
	v_bfe_u32 v3, v4, 4, 1
	s_load_b256 s[4:11], s[0:1], 0x10
	s_mov_b32 s21, 0
	v_and_b32_e32 v1, 62, v1
	v_and_b32_e32 v6, 0xf0, v2
	s_wait_alu 0xfffe
	s_lshl_b64 s[2:3], s[20:21], 2
	s_mov_b32 s23, s21
	s_load_b64 s[0:1], s[0:1], 0x40
	v_add_nc_u32_e32 v0, v1, v0
	v_lshlrev_b32_e32 v1, 3, v4
	s_lshl_b64 s[16:17], s[22:23], 2
	s_cmp_lt_u32 s18, 17
	s_delay_alu instid0(VALU_DEP_2) | instskip(NEXT) | instid1(VALU_DEP_2)
	v_lshl_or_b32 v32, v0, 1, v3
	v_and_b32_e32 v7, 0x78, v1
	s_delay_alu instid0(VALU_DEP_2) | instskip(SKIP_1) | instid1(VALU_DEP_2)
	v_mul_u32_u24_e32 v33, 0x180, v32
	s_wait_kmcnt 0x0
	v_mad_co_u64_u32 v[116:117], null, s12, v32, v[6:7]
	v_mov_b32_e32 v117, 0
	v_mad_co_u64_u32 v[2:3], null, s13, v32, v[7:8]
	s_add_nc_u64 s[2:3], s[4:5], s[2:3]
	s_wait_alu 0xfffe
	s_add_nc_u64 s[16:17], s[6:7], s[16:17]
	v_mov_b32_e32 v3, v117
	v_lshlrev_b64_e32 v[0:1], 2, v[116:117]
	v_mad_u32_u24 v6, 0x180, v32, v6
	v_or_b32_e32 v7, v33, v7
	s_delay_alu instid0(VALU_DEP_4) | instskip(NEXT) | instid1(VALU_DEP_4)
	v_lshlrev_b64_e32 v[2:3], 2, v[2:3]
	v_add_co_u32 v20, vcc_lo, s2, v0
	s_delay_alu instid0(VALU_DEP_1) | instskip(SKIP_1) | instid1(VALU_DEP_3)
	v_add_co_ci_u32_e64 v21, null, s3, v1, vcc_lo
	s_wait_alu 0xfffe
	v_add_co_u32 v28, vcc_lo, s16, v2
	s_wait_alu 0xfffd
	v_add_co_ci_u32_e64 v29, null, s17, v3, vcc_lo
	s_clause 0x3
	global_load_b128 v[8:11], v[20:21], off offset:48
	global_load_b128 v[12:15], v[20:21], off offset:32
	;; [unrolled: 1-line block ×3, first 2 shown]
	global_load_b128 v[20:23], v[20:21], off
	s_clause 0x1
	global_load_b128 v[24:27], v[28:29], off offset:16
	global_load_b128 v[28:31], v[28:29], off
	v_lshl_add_u32 v32, v6, 2, 0
	v_lshl_add_u32 v33, v7, 2, 0
	s_wait_loadcnt 0x5
	ds_store_b128 v32, v[8:11] offset:48
	s_wait_loadcnt 0x4
	ds_store_b128 v32, v[12:15] offset:32
	;; [unrolled: 2-line block ×3, first 2 shown]
	s_wait_loadcnt 0x2
	ds_store_b128 v32, v[20:23]
	s_wait_loadcnt 0x1
	ds_store_b128 v33, v[24:27] offset:1040
	s_wait_loadcnt 0x0
	ds_store_b128 v33, v[28:31] offset:1024
	s_wait_dscnt 0x0
	s_barrier_signal -1
	s_barrier_wait -1
	global_inv scope:SCOPE_SE
	s_cbranch_scc1 .LBB0_4
; %bb.2:
	v_add_co_u32 v0, vcc_lo, s4, v0
	s_wait_alu 0xfffd
	v_add_co_ci_u32_e64 v1, null, s5, v1, vcc_lo
	v_add_co_u32 v2, vcc_lo, s6, v2
	s_wait_alu 0xfffd
	v_add_co_ci_u32_e64 v3, null, s7, v3, vcc_lo
	s_lshl_b32 s12, s12, 4
	s_lshl_b32 s13, s13, 4
	s_wait_alu 0xfffe
	s_add_co_i32 s20, s20, s12
	s_add_co_i32 s5, 0, 0x6000
	;; [unrolled: 1-line block ×3, first 2 shown]
	s_mov_b32 s4, 16
	s_mov_b32 s6, s21
.LBB0_3:                                ; =>This Inner Loop Header: Depth=1
	s_wait_alu 0xfffe
	s_lshl_b64 s[16:17], s[20:21], 2
	s_mov_b32 s3, s21
	s_wait_alu 0xfffe
	v_add_co_u32 v20, vcc_lo, v0, s16
	s_wait_alu 0xfffd
	v_add_co_ci_u32_e64 v21, null, s17, v1, vcc_lo
	s_lshl_b64 s[16:17], s[2:3], 2
	v_lshl_add_u32 v32, v6, 2, s5
	s_wait_alu 0xfffe
	v_add_co_u32 v28, vcc_lo, v2, s16
	s_wait_alu 0xfffd
	v_add_co_ci_u32_e64 v29, null, s17, v3, vcc_lo
	s_clause 0x3
	global_load_b128 v[8:11], v[20:21], off offset:48
	global_load_b128 v[12:15], v[20:21], off offset:32
	;; [unrolled: 1-line block ×3, first 2 shown]
	global_load_b128 v[20:23], v[20:21], off
	s_clause 0x1
	global_load_b128 v[24:27], v[28:29], off offset:16
	global_load_b128 v[28:31], v[28:29], off
	s_mov_b32 s3, s6
	s_add_co_i32 s4, s4, 16
	s_add_co_i32 s20, s20, s12
	;; [unrolled: 1-line block ×3, first 2 shown]
	v_lshl_add_u32 v33, v7, 2, s5
	s_mov_b32 s6, s5
	s_wait_alu 0xfffe
	s_mov_b32 s5, s3
	s_cmp_ge_u32 s4, s18
	s_wait_loadcnt 0x5
	ds_store_b128 v32, v[8:11] offset:48
	s_wait_loadcnt 0x4
	ds_store_b128 v32, v[12:15] offset:32
	;; [unrolled: 2-line block ×3, first 2 shown]
	s_wait_loadcnt 0x2
	ds_store_b128 v32, v[20:23]
	s_wait_loadcnt 0x1
	ds_store_b128 v33, v[24:27] offset:1040
	s_wait_loadcnt 0x0
	ds_store_b128 v33, v[28:31] offset:1024
	s_wait_dscnt 0x0
	s_barrier_signal -1
	s_barrier_wait -1
	global_inv scope:SCOPE_SE
	s_cbranch_scc0 .LBB0_3
.LBB0_4:
	v_lshlrev_b32_e32 v0, 2, v4
	v_and_b32_e32 v121, 32, v5
	s_mul_f32 s0, s0, 0
	s_delay_alu instid0(VALU_DEP_2) | instskip(NEXT) | instid1(VALU_DEP_1)
	v_and_b32_e32 v119, 60, v0
	v_mad_co_u64_u32 v[0:1], null, s14, v120, v[118:119]
	s_delay_alu instid0(VALU_DEP_3) | instskip(SKIP_4) | instid1(VALU_DEP_4)
	v_mad_co_u64_u32 v[4:5], null, s14, v121, v[119:120]
	v_mov_b32_e32 v1, v117
	v_mov_b32_e32 v5, v117
	v_mad_co_u64_u32 v[134:135], null, s15, v120, v[118:119]
	v_mad_co_u64_u32 v[120:121], null, s15, v121, v[119:120]
	v_lshlrev_b64_e32 v[0:1], 2, v[0:1]
	v_add_nc_u32_e32 v116, s14, v4
	v_lshlrev_b64_e32 v[2:3], 2, v[4:5]
	v_mov_b32_e32 v135, v117
	v_mov_b32_e32 v121, v117
	v_add_co_u32 v72, vcc_lo, s8, v0
	v_lshlrev_b64_e32 v[4:5], 2, v[116:117]
	s_wait_alu 0xfffd
	v_add_co_ci_u32_e64 v73, null, s9, v1, vcc_lo
	s_delay_alu instid0(VALU_DEP_3) | instskip(SKIP_2) | instid1(VALU_DEP_3)
	v_add_co_u32 v0, vcc_lo, v72, v2
	v_add_nc_u32_e32 v116, s14, v116
	s_wait_alu 0xfffd
	v_add_co_ci_u32_e64 v1, null, v73, v3, vcc_lo
	v_add_co_u32 v4, vcc_lo, v72, v4
	s_wait_alu 0xfffd
	v_add_co_ci_u32_e64 v5, null, v73, v5, vcc_lo
	global_load_b128 v[0:3], v[0:1], off
	v_lshlrev_b64_e32 v[118:119], 2, v[134:135]
	v_lshlrev_b64_e32 v[134:135], 2, v[120:121]
	global_load_b128 v[122:125], v[4:5], off
	v_lshlrev_b64_e32 v[4:5], 2, v[116:117]
	v_add_nc_u32_e32 v116, s14, v116
	s_delay_alu instid0(VALU_DEP_2) | instskip(SKIP_1) | instid1(VALU_DEP_3)
	v_add_co_u32 v4, vcc_lo, v72, v4
	s_wait_alu 0xfffd
	v_add_co_ci_u32_e64 v5, null, v73, v5, vcc_lo
	global_load_b128 v[126:129], v[4:5], off
	v_lshlrev_b64_e32 v[4:5], 2, v[116:117]
	v_add_nc_u32_e32 v116, s14, v116
	s_delay_alu instid0(VALU_DEP_1) | instskip(SKIP_1) | instid1(VALU_DEP_4)
	v_lshlrev_b64_e32 v[6:7], 2, v[116:117]
	v_add_nc_u32_e32 v116, s14, v116
	v_add_co_u32 v4, vcc_lo, v72, v4
	s_wait_alu 0xfffd
	v_add_co_ci_u32_e64 v5, null, v73, v5, vcc_lo
	s_delay_alu instid0(VALU_DEP_3)
	v_lshlrev_b64_e32 v[8:9], 2, v[116:117]
	v_add_nc_u32_e32 v116, s14, v116
	global_load_b128 v[112:115], v[4:5], off
	v_add_co_u32 v4, vcc_lo, v72, v6
	s_wait_alu 0xfffd
	v_add_co_ci_u32_e64 v5, null, v73, v7, vcc_lo
	v_lshlrev_b64_e32 v[6:7], 2, v[116:117]
	v_add_nc_u32_e32 v116, s14, v116
	v_add_co_u32 v8, vcc_lo, v72, v8
	s_wait_alu 0xfffd
	v_add_co_ci_u32_e64 v9, null, v73, v9, vcc_lo
	s_delay_alu instid0(VALU_DEP_3)
	v_lshlrev_b64_e32 v[10:11], 2, v[116:117]
	v_add_nc_u32_e32 v116, s14, v116
	s_clause 0x1
	global_load_b128 v[130:133], v[4:5], off
	global_load_b128 v[108:111], v[8:9], off
	v_add_co_u32 v4, vcc_lo, v72, v6
	s_wait_alu 0xfffd
	v_add_co_ci_u32_e64 v5, null, v73, v7, vcc_lo
	v_lshlrev_b64_e32 v[6:7], 2, v[116:117]
	v_add_nc_u32_e32 v116, s14, v116
	v_add_co_u32 v8, vcc_lo, v72, v10
	s_wait_alu 0xfffd
	v_add_co_ci_u32_e64 v9, null, v73, v11, vcc_lo
	s_delay_alu instid0(VALU_DEP_3)
	v_lshlrev_b64_e32 v[12:13], 2, v[116:117]
	v_add_nc_u32_e32 v116, s14, v116
	s_clause 0x1
	global_load_b128 v[28:31], v[4:5], off
	global_load_b128 v[8:11], v[8:9], off
	v_add_co_u32 v6, vcc_lo, v72, v6
	s_wait_alu 0xfffd
	v_add_co_ci_u32_e64 v7, null, v73, v7, vcc_lo
	v_lshlrev_b64_e32 v[4:5], 2, v[116:117]
	v_add_nc_u32_e32 v116, s14, v116
	v_add_co_u32 v12, vcc_lo, v72, v12
	s_wait_alu 0xfffd
	v_add_co_ci_u32_e64 v13, null, v73, v13, vcc_lo
	s_delay_alu instid0(VALU_DEP_3)
	v_lshlrev_b64_e32 v[14:15], 2, v[116:117]
	v_add_nc_u32_e32 v116, s14, v116
	v_add_co_u32 v20, vcc_lo, v72, v4
	s_wait_alu 0xfffd
	v_add_co_ci_u32_e64 v21, null, v73, v5, vcc_lo
	s_clause 0x1
	global_load_b128 v[16:19], v[6:7], off
	global_load_b128 v[4:7], v[12:13], off
	v_lshlrev_b64_e32 v[12:13], 2, v[116:117]
	v_add_nc_u32_e32 v116, s14, v116
	v_add_co_u32 v14, vcc_lo, v72, v14
	s_wait_alu 0xfffd
	v_add_co_ci_u32_e64 v15, null, v73, v15, vcc_lo
	s_delay_alu instid0(VALU_DEP_3)
	v_lshlrev_b64_e32 v[24:25], 2, v[116:117]
	v_add_nc_u32_e32 v116, s14, v116
	s_clause 0x1
	global_load_b128 v[32:35], v[20:21], off
	global_load_b128 v[20:23], v[14:15], off
	v_add_co_u32 v12, vcc_lo, v72, v12
	s_wait_alu 0xfffd
	v_add_co_ci_u32_e64 v13, null, v73, v13, vcc_lo
	v_lshlrev_b64_e32 v[14:15], 2, v[116:117]
	v_add_nc_u32_e32 v116, s14, v116
	v_add_co_u32 v24, vcc_lo, v72, v24
	s_wait_alu 0xfffd
	v_add_co_ci_u32_e64 v25, null, v73, v25, vcc_lo
	s_delay_alu instid0(VALU_DEP_3)
	v_lshlrev_b64_e32 v[26:27], 2, v[116:117]
	v_add_nc_u32_e32 v116, s14, v116
	v_add_co_u32 v36, vcc_lo, v72, v14
	s_wait_alu 0xfffd
	v_add_co_ci_u32_e64 v37, null, v73, v15, vcc_lo
	s_clause 0x1
	global_load_b128 v[40:43], v[12:13], off
	global_load_b128 v[12:15], v[24:25], off
	v_lshlrev_b64_e32 v[24:25], 2, v[116:117]
	v_add_nc_u32_e32 v116, s14, v116
	v_add_co_u32 v26, vcc_lo, v72, v26
	s_wait_alu 0xfffd
	v_add_co_ci_u32_e64 v27, null, v73, v27, vcc_lo
	s_delay_alu instid0(VALU_DEP_3) | instskip(SKIP_4) | instid1(VALU_DEP_3)
	v_lshlrev_b64_e32 v[44:45], 2, v[116:117]
	v_add_nc_u32_e32 v116, s14, v116
	v_add_co_u32 v46, vcc_lo, v72, v24
	s_wait_alu 0xfffd
	v_add_co_ci_u32_e64 v47, null, v73, v25, vcc_lo
	v_lshlrev_b64_e32 v[48:49], 2, v[116:117]
	v_add_nc_u32_e32 v116, s14, v116
	v_add_co_u32 v44, vcc_lo, v72, v44
	s_wait_alu 0xfffd
	v_add_co_ci_u32_e64 v45, null, v73, v45, vcc_lo
	s_delay_alu instid0(VALU_DEP_3)
	v_lshlrev_b64_e32 v[52:53], 2, v[116:117]
	v_add_nc_u32_e32 v116, s14, v116
	v_add_co_u32 v54, vcc_lo, v72, v48
	s_clause 0x1
	global_load_b128 v[36:39], v[36:37], off
	global_load_b128 v[24:27], v[26:27], off
	s_wait_alu 0xfffd
	v_add_co_ci_u32_e64 v55, null, v73, v49, vcc_lo
	v_lshlrev_b64_e32 v[56:57], 2, v[116:117]
	v_add_nc_u32_e32 v116, s14, v116
	v_add_co_u32 v52, vcc_lo, v72, v52
	s_wait_alu 0xfffd
	v_add_co_ci_u32_e64 v53, null, v73, v53, vcc_lo
	s_clause 0x1
	global_load_b128 v[48:51], v[46:47], off
	global_load_b128 v[44:47], v[44:45], off
	v_lshlrev_b64_e32 v[58:59], 2, v[116:117]
	v_add_nc_u32_e32 v116, s14, v116
	s_clause 0x1
	global_load_b128 v[60:63], v[54:55], off
	global_load_b128 v[52:55], v[52:53], off
	v_add_co_u32 v56, vcc_lo, v72, v56
	s_wait_alu 0xfffd
	v_add_co_ci_u32_e64 v57, null, v73, v57, vcc_lo
	v_lshlrev_b64_e32 v[64:65], 2, v[116:117]
	v_add_nc_u32_e32 v116, s14, v116
	v_add_co_u32 v58, vcc_lo, v72, v58
	s_wait_alu 0xfffd
	v_add_co_ci_u32_e64 v59, null, v73, v59, vcc_lo
	s_delay_alu instid0(VALU_DEP_3) | instskip(SKIP_4) | instid1(VALU_DEP_3)
	v_lshlrev_b64_e32 v[66:67], 2, v[116:117]
	v_add_nc_u32_e32 v116, s14, v116
	v_add_co_u32 v64, vcc_lo, v72, v64
	s_wait_alu 0xfffd
	v_add_co_ci_u32_e64 v65, null, v73, v65, vcc_lo
	v_lshlrev_b64_e32 v[74:75], 2, v[116:117]
	v_add_nc_u32_e32 v116, s14, v116
	v_add_co_u32 v66, vcc_lo, v72, v66
	s_wait_alu 0xfffd
	v_add_co_ci_u32_e64 v67, null, v73, v67, vcc_lo
	s_clause 0x1
	global_load_b128 v[68:71], v[56:57], off
	global_load_b128 v[56:59], v[58:59], off
	v_lshlrev_b64_e32 v[76:77], 2, v[116:117]
	v_add_nc_u32_e32 v116, s14, v116
	s_clause 0x1
	global_load_b128 v[80:83], v[64:65], off
	global_load_b128 v[64:67], v[66:67], off
	v_add_co_u32 v74, vcc_lo, v72, v74
	s_wait_alu 0xfffd
	v_add_co_ci_u32_e64 v75, null, v73, v75, vcc_lo
	v_lshlrev_b64_e32 v[78:79], 2, v[116:117]
	v_add_nc_u32_e32 v116, s14, v116
	v_add_co_u32 v76, vcc_lo, v72, v76
	s_wait_alu 0xfffd
	v_add_co_ci_u32_e64 v77, null, v73, v77, vcc_lo
	s_delay_alu instid0(VALU_DEP_3)
	v_lshlrev_b64_e32 v[84:85], 2, v[116:117]
	v_add_nc_u32_e32 v116, s14, v116
	v_add_co_u32 v86, vcc_lo, v72, v78
	s_wait_alu 0xfffd
	v_add_co_ci_u32_e64 v87, null, v73, v79, vcc_lo
	s_clause 0x1
	global_load_b128 v[92:95], v[74:75], off
	global_load_b128 v[76:79], v[76:77], off
	v_lshlrev_b64_e32 v[74:75], 2, v[116:117]
	v_add_nc_u32_e32 v116, s14, v116
	v_add_co_u32 v84, vcc_lo, v72, v84
	s_wait_alu 0xfffd
	v_add_co_ci_u32_e64 v85, null, v73, v85, vcc_lo
	s_delay_alu instid0(VALU_DEP_3)
	v_lshlrev_b64_e32 v[88:89], 2, v[116:117]
	s_clause 0x1
	global_load_b128 v[104:107], v[86:87], off
	global_load_b128 v[84:87], v[84:85], off
	v_add_nc_u32_e32 v116, s14, v116
	v_add_co_u32 v74, vcc_lo, v72, v74
	s_wait_alu 0xfffd
	v_add_co_ci_u32_e64 v75, null, v73, v75, vcc_lo
	v_add_co_u32 v88, vcc_lo, v72, v88
	v_lshlrev_b64_e32 v[90:91], 2, v[116:117]
	v_add_nc_u32_e32 v116, s14, v116
	s_wait_alu 0xfffd
	v_add_co_ci_u32_e64 v89, null, v73, v89, vcc_lo
	global_load_b128 v[96:99], v[74:75], off
	v_add_co_u32 v90, vcc_lo, v72, v90
	global_load_b128 v[100:103], v[88:89], off
	v_lshlrev_b64_e32 v[74:75], 2, v[116:117]
	s_wait_alu 0xfffd
	v_add_co_ci_u32_e64 v91, null, v73, v91, vcc_lo
	v_add_nc_u32_e32 v116, s15, v120
	s_delay_alu instid0(VALU_DEP_3)
	v_add_co_u32 v72, vcc_lo, v72, v74
	s_wait_alu 0xfffd
	v_add_co_ci_u32_e64 v73, null, v73, v75, vcc_lo
	s_clause 0x1
	global_load_b128 v[88:91], v[90:91], off
	global_load_b128 v[72:75], v[72:73], off
	v_add_co_u32 v118, vcc_lo, s10, v118
	s_wait_alu 0xfffd
	v_add_co_ci_u32_e64 v119, null, s11, v119, vcc_lo
	s_delay_alu instid0(VALU_DEP_2) | instskip(SKIP_1) | instid1(VALU_DEP_2)
	v_add_co_u32 v120, vcc_lo, v118, v134
	s_wait_alu 0xfffd
	v_add_co_ci_u32_e64 v121, null, v119, v135, vcc_lo
	v_lshlrev_b64_e32 v[134:135], 2, v[116:117]
	v_add_nc_u32_e32 v116, s15, v116
	s_delay_alu instid0(VALU_DEP_1) | instskip(SKIP_1) | instid1(VALU_DEP_4)
	v_lshlrev_b64_e32 v[136:137], 2, v[116:117]
	v_add_nc_u32_e32 v116, s15, v116
	v_add_co_u32 v134, vcc_lo, v118, v134
	s_wait_alu 0xfffd
	v_add_co_ci_u32_e64 v135, null, v119, v135, vcc_lo
	s_delay_alu instid0(VALU_DEP_3) | instskip(SKIP_4) | instid1(VALU_DEP_4)
	v_lshlrev_b64_e32 v[138:139], 2, v[116:117]
	v_add_nc_u32_e32 v116, s15, v116
	v_add_co_u32 v136, vcc_lo, v118, v136
	s_wait_alu 0xfffd
	v_add_co_ci_u32_e64 v137, null, v119, v137, vcc_lo
	v_add_co_u32 v138, vcc_lo, v118, v138
	s_wait_alu 0xfffd
	v_add_co_ci_u32_e64 v139, null, v119, v139, vcc_lo
	s_wait_loadcnt 0x1f
	v_fma_f32 v0, s1, v0, s0
	v_fma_f32 v1, s1, v1, s0
	;; [unrolled: 1-line block ×4, first 2 shown]
	global_store_b128 v[120:121], v[0:3], off
	v_lshlrev_b64_e32 v[120:121], 2, v[116:117]
	v_add_nc_u32_e32 v116, s15, v116
	s_wait_loadcnt 0x1e
	v_fma_f32 v0, s1, v122, s0
	v_fma_f32 v1, s1, v123, s0
	;; [unrolled: 1-line block ×4, first 2 shown]
	v_lshlrev_b64_e32 v[122:123], 2, v[116:117]
	v_add_nc_u32_e32 v116, s15, v116
	v_add_co_u32 v120, vcc_lo, v118, v120
	global_store_b128 v[134:135], v[0:3], off
	s_wait_alu 0xfffd
	v_add_co_ci_u32_e64 v121, null, v119, v121, vcc_lo
	v_lshlrev_b64_e32 v[124:125], 2, v[116:117]
	v_add_nc_u32_e32 v116, s15, v116
	v_add_co_u32 v122, vcc_lo, v118, v122
	s_wait_loadcnt 0x1d
	v_fma_f32 v0, s1, v126, s0
	v_fma_f32 v1, s1, v127, s0
	v_lshlrev_b64_e32 v[134:135], 2, v[116:117]
	v_add_nc_u32_e32 v116, s15, v116
	s_wait_alu 0xfffd
	v_add_co_ci_u32_e64 v123, null, v119, v123, vcc_lo
	v_add_co_u32 v124, vcc_lo, v118, v124
	s_delay_alu instid0(VALU_DEP_3)
	v_lshlrev_b64_e32 v[126:127], 2, v[116:117]
	v_add_nc_u32_e32 v116, s15, v116
	s_wait_alu 0xfffd
	v_add_co_ci_u32_e64 v125, null, v119, v125, vcc_lo
	v_fma_f32 v2, s1, v128, s0
	v_add_co_u32 v128, vcc_lo, v118, v134
	v_fma_f32 v3, s1, v129, s0
	s_wait_alu 0xfffd
	v_add_co_ci_u32_e64 v129, null, v119, v135, vcc_lo
	v_lshlrev_b64_e32 v[134:135], 2, v[116:117]
	v_add_nc_u32_e32 v116, s15, v116
	global_store_b128 v[136:137], v[0:3], off
	v_add_co_u32 v126, vcc_lo, v118, v126
	s_wait_loadcnt 0x1c
	v_fma_f32 v0, s1, v112, s0
	v_lshlrev_b64_e32 v[136:137], 2, v[116:117]
	v_add_nc_u32_e32 v116, s15, v116
	v_fma_f32 v1, s1, v113, s0
	s_wait_alu 0xfffd
	v_add_co_ci_u32_e64 v127, null, v119, v127, vcc_lo
	v_add_co_u32 v134, vcc_lo, v118, v134
	v_lshlrev_b64_e32 v[112:113], 2, v[116:117]
	v_add_nc_u32_e32 v116, s15, v116
	s_wait_alu 0xfffd
	v_add_co_ci_u32_e64 v135, null, v119, v135, vcc_lo
	v_fma_f32 v2, s1, v114, s0
	v_add_co_u32 v114, vcc_lo, v118, v136
	v_fma_f32 v3, s1, v115, s0
	s_wait_alu 0xfffd
	v_add_co_ci_u32_e64 v115, null, v119, v137, vcc_lo
	v_lshlrev_b64_e32 v[136:137], 2, v[116:117]
	v_add_nc_u32_e32 v116, s15, v116
	global_store_b128 v[138:139], v[0:3], off
	v_add_co_u32 v112, vcc_lo, v118, v112
	s_wait_loadcnt 0x1b
	v_fma_f32 v0, s1, v130, s0
	v_lshlrev_b64_e32 v[138:139], 2, v[116:117]
	v_add_nc_u32_e32 v116, s15, v116
	v_fma_f32 v1, s1, v131, s0
	v_fma_f32 v2, s1, v132, s0
	;; [unrolled: 1-line block ×3, first 2 shown]
	s_wait_alu 0xfffd
	v_add_co_ci_u32_e64 v113, null, v119, v113, vcc_lo
	v_lshlrev_b64_e32 v[130:131], 2, v[116:117]
	v_add_nc_u32_e32 v116, s15, v116
	v_add_co_u32 v136, vcc_lo, v118, v136
	s_wait_alu 0xfffd
	v_add_co_ci_u32_e64 v137, null, v119, v137, vcc_lo
	v_add_co_u32 v132, vcc_lo, v118, v138
	s_wait_alu 0xfffd
	v_add_co_ci_u32_e64 v133, null, v119, v139, vcc_lo
	v_lshlrev_b64_e32 v[138:139], 2, v[116:117]
	v_add_nc_u32_e32 v116, s15, v116
	global_store_b128 v[120:121], v[0:3], off
	s_wait_loadcnt 0x1a
	v_fma_f32 v0, s1, v108, s0
	v_fma_f32 v1, s1, v109, s0
	;; [unrolled: 1-line block ×4, first 2 shown]
	v_lshlrev_b64_e32 v[120:121], 2, v[116:117]
	v_add_nc_u32_e32 v116, s15, v116
	s_wait_loadcnt 0x18
	v_fma_f32 v8, s1, v8, s0
	v_fma_f32 v9, s1, v9, s0
	global_store_b128 v[122:123], v[0:3], off
	v_fma_f32 v0, s1, v28, s0
	v_fma_f32 v1, s1, v29, s0
	;; [unrolled: 1-line block ×6, first 2 shown]
	v_lshlrev_b64_e32 v[110:111], 2, v[116:117]
	v_add_nc_u32_e32 v116, s15, v116
	s_clause 0x1
	global_store_b128 v[124:125], v[0:3], off
	global_store_b128 v[128:129], v[8:11], off
	s_wait_loadcnt 0x17
	v_fma_f32 v0, s1, v16, s0
	v_fma_f32 v1, s1, v17, s0
	;; [unrolled: 1-line block ×4, first 2 shown]
	v_add_co_u32 v130, vcc_lo, v118, v130
	s_wait_loadcnt 0x16
	v_fma_f32 v4, s1, v4, s0
	v_fma_f32 v5, s1, v5, s0
	;; [unrolled: 1-line block ×4, first 2 shown]
	s_wait_loadcnt 0x15
	v_fma_f32 v8, s1, v32, s0
	v_fma_f32 v9, s1, v33, s0
	;; [unrolled: 1-line block ×4, first 2 shown]
	s_wait_alu 0xfffd
	v_add_co_ci_u32_e64 v131, null, v119, v131, vcc_lo
	v_add_co_u32 v108, vcc_lo, v118, v138
	s_wait_loadcnt 0x14
	v_fma_f32 v16, s1, v20, s0
	v_fma_f32 v17, s1, v21, s0
	;; [unrolled: 1-line block ×4, first 2 shown]
	s_wait_loadcnt 0x13
	v_fma_f32 v20, s1, v40, s0
	v_fma_f32 v21, s1, v41, s0
	;; [unrolled: 1-line block ×4, first 2 shown]
	s_wait_alu 0xfffd
	v_add_co_ci_u32_e64 v109, null, v119, v139, vcc_lo
	v_lshlrev_b64_e32 v[138:139], 2, v[116:117]
	v_add_nc_u32_e32 v116, s15, v116
	s_clause 0x4
	global_store_b128 v[126:127], v[0:3], off
	global_store_b128 v[134:135], v[4:7], off
	;; [unrolled: 1-line block ×5, first 2 shown]
	s_wait_loadcnt 0x12
	v_fma_f32 v0, s1, v12, s0
	v_fma_f32 v1, s1, v13, s0
	;; [unrolled: 1-line block ×4, first 2 shown]
	s_wait_loadcnt 0x11
	v_fma_f32 v4, s1, v36, s0
	v_fma_f32 v5, s1, v37, s0
	;; [unrolled: 1-line block ×4, first 2 shown]
	v_add_co_u32 v120, vcc_lo, v118, v120
	s_wait_alu 0xfffd
	v_add_co_ci_u32_e64 v121, null, v119, v121, vcc_lo
	v_add_co_u32 v110, vcc_lo, v118, v110
	v_lshlrev_b64_e32 v[122:123], 2, v[116:117]
	global_store_b128 v[132:133], v[0:3], off
	s_wait_loadcnt 0x10
	v_fma_f32 v0, s1, v24, s0
	v_fma_f32 v1, s1, v25, s0
	;; [unrolled: 1-line block ×4, first 2 shown]
	v_add_nc_u32_e32 v116, s15, v116
	s_wait_alu 0xfffd
	v_add_co_ci_u32_e64 v111, null, v119, v111, vcc_lo
	v_add_co_u32 v138, vcc_lo, v118, v138
	global_store_b128 v[130:131], v[4:7], off
	s_wait_loadcnt 0xf
	v_fma_f32 v4, s1, v48, s0
	v_fma_f32 v5, s1, v49, s0
	;; [unrolled: 1-line block ×4, first 2 shown]
	s_wait_loadcnt 0xe
	v_fma_f32 v8, s1, v44, s0
	v_fma_f32 v9, s1, v45, s0
	;; [unrolled: 1-line block ×4, first 2 shown]
	s_wait_alu 0xfffd
	v_add_co_ci_u32_e64 v139, null, v119, v139, vcc_lo
	s_wait_loadcnt 0xd
	v_fma_f32 v12, s1, v60, s0
	v_fma_f32 v13, s1, v61, s0
	;; [unrolled: 1-line block ×4, first 2 shown]
	s_clause 0x3
	global_store_b128 v[108:109], v[0:3], off
	global_store_b128 v[120:121], v[4:7], off
	;; [unrolled: 1-line block ×4, first 2 shown]
	v_lshlrev_b64_e32 v[0:1], 2, v[116:117]
	v_add_nc_u32_e32 v116, s15, v116
	v_add_co_u32 v2, vcc_lo, v118, v122
	s_wait_alu 0xfffd
	v_add_co_ci_u32_e64 v3, null, v119, v123, vcc_lo
	s_delay_alu instid0(VALU_DEP_3) | instskip(SKIP_4) | instid1(VALU_DEP_3)
	v_lshlrev_b64_e32 v[4:5], 2, v[116:117]
	v_add_nc_u32_e32 v116, s15, v116
	v_add_co_u32 v0, vcc_lo, v118, v0
	s_wait_alu 0xfffd
	v_add_co_ci_u32_e64 v1, null, v119, v1, vcc_lo
	v_lshlrev_b64_e32 v[6:7], 2, v[116:117]
	v_add_nc_u32_e32 v116, s15, v116
	v_add_co_u32 v4, vcc_lo, v118, v4
	s_wait_loadcnt 0xc
	v_fma_f32 v16, s1, v52, s0
	v_fma_f32 v17, s1, v53, s0
	;; [unrolled: 1-line block ×4, first 2 shown]
	v_lshlrev_b64_e32 v[8:9], 2, v[116:117]
	v_add_nc_u32_e32 v116, s15, v116
	s_wait_loadcnt 0xb
	v_fma_f32 v20, s1, v68, s0
	v_fma_f32 v21, s1, v69, s0
	;; [unrolled: 1-line block ×4, first 2 shown]
	s_wait_alu 0xfffd
	v_add_co_ci_u32_e64 v5, null, v119, v5, vcc_lo
	v_add_co_u32 v6, vcc_lo, v118, v6
	s_wait_loadcnt 0xa
	v_fma_f32 v24, s1, v56, s0
	v_fma_f32 v25, s1, v57, s0
	;; [unrolled: 1-line block ×4, first 2 shown]
	s_wait_loadcnt 0x9
	v_fma_f32 v28, s1, v80, s0
	v_fma_f32 v29, s1, v81, s0
	;; [unrolled: 1-line block ×4, first 2 shown]
	s_wait_alu 0xfffd
	v_add_co_ci_u32_e64 v7, null, v119, v7, vcc_lo
	s_clause 0x3
	global_store_b128 v[2:3], v[16:19], off
	global_store_b128 v[0:1], v[20:23], off
	;; [unrolled: 1-line block ×4, first 2 shown]
	v_lshlrev_b64_e32 v[0:1], 2, v[116:117]
	v_add_nc_u32_e32 v116, s15, v116
	v_add_co_u32 v2, vcc_lo, v118, v8
	s_wait_alu 0xfffd
	v_add_co_ci_u32_e64 v3, null, v119, v9, vcc_lo
	s_delay_alu instid0(VALU_DEP_3) | instskip(SKIP_4) | instid1(VALU_DEP_3)
	v_lshlrev_b64_e32 v[4:5], 2, v[116:117]
	v_add_nc_u32_e32 v116, s15, v116
	v_add_co_u32 v0, vcc_lo, v118, v0
	s_wait_alu 0xfffd
	v_add_co_ci_u32_e64 v1, null, v119, v1, vcc_lo
	v_lshlrev_b64_e32 v[6:7], 2, v[116:117]
	v_add_nc_u32_e32 v116, s15, v116
	v_add_co_u32 v4, vcc_lo, v118, v4
	s_wait_loadcnt 0x8
	v_fma_f32 v32, s1, v64, s0
	v_fma_f32 v33, s1, v65, s0
	;; [unrolled: 1-line block ×4, first 2 shown]
	v_lshlrev_b64_e32 v[8:9], 2, v[116:117]
	v_add_nc_u32_e32 v116, s15, v116
	s_wait_loadcnt 0x7
	v_fma_f32 v36, s1, v92, s0
	v_fma_f32 v37, s1, v93, s0
	;; [unrolled: 1-line block ×4, first 2 shown]
	s_wait_alu 0xfffd
	v_add_co_ci_u32_e64 v5, null, v119, v5, vcc_lo
	v_add_co_u32 v6, vcc_lo, v118, v6
	s_wait_loadcnt 0x6
	v_fma_f32 v40, s1, v76, s0
	v_fma_f32 v41, s1, v77, s0
	;; [unrolled: 1-line block ×4, first 2 shown]
	s_wait_loadcnt 0x5
	v_fma_f32 v44, s1, v104, s0
	v_fma_f32 v45, s1, v105, s0
	;; [unrolled: 1-line block ×4, first 2 shown]
	s_wait_alu 0xfffd
	v_add_co_ci_u32_e64 v7, null, v119, v7, vcc_lo
	s_clause 0x3
	global_store_b128 v[2:3], v[32:35], off
	global_store_b128 v[0:1], v[36:39], off
	;; [unrolled: 1-line block ×4, first 2 shown]
	v_lshlrev_b64_e32 v[0:1], 2, v[116:117]
	v_add_nc_u32_e32 v116, s15, v116
	v_add_co_u32 v2, vcc_lo, v118, v8
	s_wait_alu 0xfffd
	v_add_co_ci_u32_e64 v3, null, v119, v9, vcc_lo
	s_delay_alu instid0(VALU_DEP_3) | instskip(SKIP_4) | instid1(VALU_DEP_3)
	v_lshlrev_b64_e32 v[4:5], 2, v[116:117]
	v_add_nc_u32_e32 v116, s15, v116
	v_add_co_u32 v0, vcc_lo, v118, v0
	s_wait_alu 0xfffd
	v_add_co_ci_u32_e64 v1, null, v119, v1, vcc_lo
	v_lshlrev_b64_e32 v[6:7], 2, v[116:117]
	v_add_nc_u32_e32 v116, s15, v116
	v_add_co_u32 v4, vcc_lo, v118, v4
	s_wait_loadcnt 0x4
	v_fma_f32 v48, s1, v84, s0
	v_fma_f32 v49, s1, v85, s0
	v_lshlrev_b64_e32 v[8:9], 2, v[116:117]
	v_fma_f32 v50, s1, v86, s0
	v_fma_f32 v51, s1, v87, s0
	s_wait_alu 0xfffd
	v_add_co_ci_u32_e64 v5, null, v119, v5, vcc_lo
	v_add_co_u32 v6, vcc_lo, v118, v6
	s_wait_loadcnt 0x3
	v_fma_f32 v52, s1, v96, s0
	v_fma_f32 v53, s1, v97, s0
	;; [unrolled: 1-line block ×4, first 2 shown]
	s_wait_loadcnt 0x2
	v_fma_f32 v56, s1, v100, s0
	v_fma_f32 v57, s1, v101, s0
	;; [unrolled: 1-line block ×4, first 2 shown]
	s_wait_alu 0xfffd
	v_add_co_ci_u32_e64 v7, null, v119, v7, vcc_lo
	v_add_co_u32 v8, vcc_lo, v118, v8
	s_wait_loadcnt 0x1
	v_fma_f32 v60, s1, v88, s0
	v_fma_f32 v61, s1, v89, s0
	v_fma_f32 v62, s1, v90, s0
	v_fma_f32 v63, s1, v91, s0
	s_wait_loadcnt 0x0
	v_fma_f32 v64, s1, v72, s0
	v_fma_f32 v65, s1, v73, s0
	;; [unrolled: 1-line block ×4, first 2 shown]
	s_wait_alu 0xfffd
	v_add_co_ci_u32_e64 v9, null, v119, v9, vcc_lo
	s_clause 0x4
	global_store_b128 v[2:3], v[48:51], off
	global_store_b128 v[0:1], v[52:55], off
	;; [unrolled: 1-line block ×5, first 2 shown]
.LBB0_5:
	s_nop 0
	s_sendmsg sendmsg(MSG_DEALLOC_VGPRS)
	s_endpgm
	.section	.rodata,"a",@progbits
	.p2align	6, 0x0
	.amdhsa_kernel _Z15sgemm_rocwmma_djjjPKfS0_S0_Pfjjjjff
		.amdhsa_group_segment_fixed_size 0
		.amdhsa_private_segment_fixed_size 0
		.amdhsa_kernarg_size 72
		.amdhsa_user_sgpr_count 2
		.amdhsa_user_sgpr_dispatch_ptr 0
		.amdhsa_user_sgpr_queue_ptr 0
		.amdhsa_user_sgpr_kernarg_segment_ptr 1
		.amdhsa_user_sgpr_dispatch_id 0
		.amdhsa_user_sgpr_private_segment_size 0
		.amdhsa_wavefront_size32 1
		.amdhsa_uses_dynamic_stack 0
		.amdhsa_enable_private_segment 0
		.amdhsa_system_sgpr_workgroup_id_x 1
		.amdhsa_system_sgpr_workgroup_id_y 1
		.amdhsa_system_sgpr_workgroup_id_z 0
		.amdhsa_system_sgpr_workgroup_info 0
		.amdhsa_system_vgpr_workitem_id 1
		.amdhsa_next_free_vgpr 140
		.amdhsa_next_free_sgpr 24
		.amdhsa_reserve_vcc 1
		.amdhsa_float_round_mode_32 0
		.amdhsa_float_round_mode_16_64 0
		.amdhsa_float_denorm_mode_32 3
		.amdhsa_float_denorm_mode_16_64 3
		.amdhsa_fp16_overflow 0
		.amdhsa_workgroup_processor_mode 1
		.amdhsa_memory_ordered 1
		.amdhsa_forward_progress 1
		.amdhsa_inst_pref_size 39
		.amdhsa_round_robin_scheduling 0
		.amdhsa_exception_fp_ieee_invalid_op 0
		.amdhsa_exception_fp_denorm_src 0
		.amdhsa_exception_fp_ieee_div_zero 0
		.amdhsa_exception_fp_ieee_overflow 0
		.amdhsa_exception_fp_ieee_underflow 0
		.amdhsa_exception_fp_ieee_inexact 0
		.amdhsa_exception_int_div_zero 0
	.end_amdhsa_kernel
	.text
.Lfunc_end0:
	.size	_Z15sgemm_rocwmma_djjjPKfS0_S0_Pfjjjjff, .Lfunc_end0-_Z15sgemm_rocwmma_djjjPKfS0_S0_Pfjjjjff
                                        ; -- End function
	.set _Z15sgemm_rocwmma_djjjPKfS0_S0_Pfjjjjff.num_vgpr, 140
	.set _Z15sgemm_rocwmma_djjjPKfS0_S0_Pfjjjjff.num_agpr, 0
	.set _Z15sgemm_rocwmma_djjjPKfS0_S0_Pfjjjjff.numbered_sgpr, 24
	.set _Z15sgemm_rocwmma_djjjPKfS0_S0_Pfjjjjff.num_named_barrier, 0
	.set _Z15sgemm_rocwmma_djjjPKfS0_S0_Pfjjjjff.private_seg_size, 0
	.set _Z15sgemm_rocwmma_djjjPKfS0_S0_Pfjjjjff.uses_vcc, 1
	.set _Z15sgemm_rocwmma_djjjPKfS0_S0_Pfjjjjff.uses_flat_scratch, 0
	.set _Z15sgemm_rocwmma_djjjPKfS0_S0_Pfjjjjff.has_dyn_sized_stack, 0
	.set _Z15sgemm_rocwmma_djjjPKfS0_S0_Pfjjjjff.has_recursion, 0
	.set _Z15sgemm_rocwmma_djjjPKfS0_S0_Pfjjjjff.has_indirect_call, 0
	.section	.AMDGPU.csdata,"",@progbits
; Kernel info:
; codeLenInByte = 4896
; TotalNumSgprs: 26
; NumVgprs: 140
; ScratchSize: 0
; MemoryBound: 1
; FloatMode: 240
; IeeeMode: 1
; LDSByteSize: 0 bytes/workgroup (compile time only)
; SGPRBlocks: 0
; VGPRBlocks: 17
; NumSGPRsForWavesPerEU: 26
; NumVGPRsForWavesPerEU: 140
; Occupancy: 10
; WaveLimiterHint : 0
; COMPUTE_PGM_RSRC2:SCRATCH_EN: 0
; COMPUTE_PGM_RSRC2:USER_SGPR: 2
; COMPUTE_PGM_RSRC2:TRAP_HANDLER: 0
; COMPUTE_PGM_RSRC2:TGID_X_EN: 1
; COMPUTE_PGM_RSRC2:TGID_Y_EN: 1
; COMPUTE_PGM_RSRC2:TGID_Z_EN: 0
; COMPUTE_PGM_RSRC2:TIDIG_COMP_CNT: 1
	.text
	.p2alignl 7, 3214868480
	.fill 96, 4, 3214868480
	.section	.AMDGPU.gpr_maximums,"",@progbits
	.set amdgpu.max_num_vgpr, 0
	.set amdgpu.max_num_agpr, 0
	.set amdgpu.max_num_sgpr, 0
	.text
	.type	__hip_cuid_392532a84fbba2e1,@object ; @__hip_cuid_392532a84fbba2e1
	.section	.bss,"aw",@nobits
	.globl	__hip_cuid_392532a84fbba2e1
__hip_cuid_392532a84fbba2e1:
	.byte	0                               ; 0x0
	.size	__hip_cuid_392532a84fbba2e1, 1

	.ident	"AMD clang version 22.0.0git (https://github.com/RadeonOpenCompute/llvm-project roc-7.2.4 26084 f58b06dce1f9c15707c5f808fd002e18c2accf7e)"
	.section	".note.GNU-stack","",@progbits
	.addrsig
	.addrsig_sym __hip_cuid_392532a84fbba2e1
	.amdgpu_metadata
---
amdhsa.kernels:
  - .args:
      - .offset:         0
        .size:           4
        .value_kind:     by_value
      - .offset:         4
        .size:           4
        .value_kind:     by_value
      - .offset:         8
        .size:           4
        .value_kind:     by_value
      - .address_space:  global
        .offset:         16
        .size:           8
        .value_kind:     global_buffer
      - .address_space:  global
        .offset:         24
        .size:           8
        .value_kind:     global_buffer
      - .address_space:  global
        .offset:         32
        .size:           8
        .value_kind:     global_buffer
      - .address_space:  global
        .offset:         40
        .size:           8
        .value_kind:     global_buffer
      - .offset:         48
        .size:           4
        .value_kind:     by_value
      - .offset:         52
        .size:           4
        .value_kind:     by_value
      - .offset:         56
        .size:           4
        .value_kind:     by_value
      - .offset:         60
        .size:           4
        .value_kind:     by_value
      - .offset:         64
        .size:           4
        .value_kind:     by_value
      - .offset:         68
        .size:           4
        .value_kind:     by_value
    .group_segment_fixed_size: 0
    .kernarg_segment_align: 8
    .kernarg_segment_size: 72
    .language:       OpenCL C
    .language_version:
      - 2
      - 0
    .max_flat_workgroup_size: 256
    .name:           _Z15sgemm_rocwmma_djjjPKfS0_S0_Pfjjjjff
    .private_segment_fixed_size: 0
    .sgpr_count:     26
    .sgpr_spill_count: 0
    .symbol:         _Z15sgemm_rocwmma_djjjPKfS0_S0_Pfjjjjff.kd
    .uniform_work_group_size: 1
    .uses_dynamic_stack: false
    .vgpr_count:     140
    .vgpr_spill_count: 0
    .wavefront_size: 32
    .workgroup_processor_mode: 1
amdhsa.target:   amdgcn-amd-amdhsa--gfx1201
amdhsa.version:
  - 1
  - 2
...

	.end_amdgpu_metadata
